;; amdgpu-corpus repo=ROCm/rocFFT kind=compiled arch=gfx950 opt=O3
	.text
	.amdgcn_target "amdgcn-amd-amdhsa--gfx950"
	.amdhsa_code_object_version 6
	.protected	fft_rtc_fwd_len2048_factors_16_16_8_wgs_256_tpt_256_halfLds_half_op_CI_CI_unitstride_sbrr_dirReg ; -- Begin function fft_rtc_fwd_len2048_factors_16_16_8_wgs_256_tpt_256_halfLds_half_op_CI_CI_unitstride_sbrr_dirReg
	.globl	fft_rtc_fwd_len2048_factors_16_16_8_wgs_256_tpt_256_halfLds_half_op_CI_CI_unitstride_sbrr_dirReg
	.p2align	8
	.type	fft_rtc_fwd_len2048_factors_16_16_8_wgs_256_tpt_256_halfLds_half_op_CI_CI_unitstride_sbrr_dirReg,@function
fft_rtc_fwd_len2048_factors_16_16_8_wgs_256_tpt_256_halfLds_half_op_CI_CI_unitstride_sbrr_dirReg: ; @fft_rtc_fwd_len2048_factors_16_16_8_wgs_256_tpt_256_halfLds_half_op_CI_CI_unitstride_sbrr_dirReg
; %bb.0:
	s_load_dwordx4 s[4:7], s[0:1], 0x58
	s_load_dwordx4 s[8:11], s[0:1], 0x0
	;; [unrolled: 1-line block ×3, first 2 shown]
	v_mov_b32_e32 v10, s2
	v_mov_b32_e32 v4, 0
	v_mov_b32_e32 v11, v4
	s_waitcnt lgkmcnt(0)
	v_cmp_lt_u64_e64 s[2:3], s[10:11], 2
	s_and_b64 vcc, exec, s[2:3]
	v_mov_b64_e32 v[2:3], 0
	s_cbranch_vccnz .LBB0_8
; %bb.1:
	s_load_dwordx2 s[2:3], s[0:1], 0x10
	s_add_u32 s16, s14, 8
	s_addc_u32 s17, s15, 0
	s_add_u32 s18, s12, 8
	s_addc_u32 s19, s13, 0
	s_waitcnt lgkmcnt(0)
	s_add_u32 s20, s2, 8
	v_mov_b64_e32 v[2:3], 0
	s_addc_u32 s21, s3, 0
	s_mov_b64 s[22:23], 1
	v_mov_b64_e32 v[6:7], v[2:3]
.LBB0_2:                                ; =>This Inner Loop Header: Depth=1
	s_load_dwordx2 s[24:25], s[20:21], 0x0
                                        ; implicit-def: $vgpr8_vgpr9
	s_waitcnt lgkmcnt(0)
	v_or_b32_e32 v5, s25, v11
	v_cmp_ne_u64_e32 vcc, 0, v[4:5]
	s_and_saveexec_b64 s[2:3], vcc
	s_xor_b64 s[26:27], exec, s[2:3]
	s_cbranch_execz .LBB0_4
; %bb.3:                                ;   in Loop: Header=BB0_2 Depth=1
	v_cvt_f32_u32_e32 v1, s24
	v_cvt_f32_u32_e32 v5, s25
	s_sub_u32 s2, 0, s24
	s_subb_u32 s3, 0, s25
	v_fmac_f32_e32 v1, 0x4f800000, v5
	v_rcp_f32_e32 v1, v1
	s_nop 0
	v_mul_f32_e32 v1, 0x5f7ffffc, v1
	v_mul_f32_e32 v5, 0x2f800000, v1
	v_trunc_f32_e32 v5, v5
	v_fmac_f32_e32 v1, 0xcf800000, v5
	v_cvt_u32_f32_e32 v5, v5
	v_cvt_u32_f32_e32 v1, v1
	v_mul_lo_u32 v8, s2, v5
	v_mul_hi_u32 v12, s2, v1
	v_mul_lo_u32 v9, s3, v1
	v_add_u32_e32 v12, v12, v8
	v_mul_lo_u32 v14, s2, v1
	v_add_u32_e32 v15, v12, v9
	v_mul_hi_u32 v8, v1, v14
	v_mul_hi_u32 v13, v1, v15
	v_mul_lo_u32 v12, v1, v15
	v_mov_b32_e32 v9, v4
	v_lshl_add_u64 v[8:9], v[8:9], 0, v[12:13]
	v_mul_hi_u32 v13, v5, v14
	v_mul_lo_u32 v14, v5, v14
	v_add_co_u32_e32 v8, vcc, v8, v14
	v_mul_hi_u32 v12, v5, v15
	s_nop 0
	v_addc_co_u32_e32 v8, vcc, v9, v13, vcc
	v_mov_b32_e32 v9, v4
	s_nop 0
	v_addc_co_u32_e32 v13, vcc, 0, v12, vcc
	v_mul_lo_u32 v12, v5, v15
	v_lshl_add_u64 v[8:9], v[8:9], 0, v[12:13]
	v_add_co_u32_e32 v1, vcc, v1, v8
	v_mul_lo_u32 v12, s2, v1
	s_nop 0
	v_addc_co_u32_e32 v5, vcc, v5, v9, vcc
	v_mul_lo_u32 v8, s2, v5
	v_mul_hi_u32 v9, s2, v1
	v_add_u32_e32 v8, v9, v8
	v_mul_lo_u32 v9, s3, v1
	v_add_u32_e32 v14, v8, v9
	v_mul_hi_u32 v16, v5, v12
	v_mul_lo_u32 v17, v5, v12
	v_mul_hi_u32 v9, v1, v14
	v_mul_lo_u32 v8, v1, v14
	v_mul_hi_u32 v12, v1, v12
	v_mov_b32_e32 v13, v4
	v_lshl_add_u64 v[8:9], v[12:13], 0, v[8:9]
	v_add_co_u32_e32 v8, vcc, v8, v17
	v_mul_hi_u32 v15, v5, v14
	s_nop 0
	v_addc_co_u32_e32 v8, vcc, v9, v16, vcc
	v_mul_lo_u32 v12, v5, v14
	s_nop 0
	v_addc_co_u32_e32 v13, vcc, 0, v15, vcc
	v_mov_b32_e32 v9, v4
	v_lshl_add_u64 v[8:9], v[8:9], 0, v[12:13]
	v_add_co_u32_e32 v1, vcc, v1, v8
	v_mul_hi_u32 v12, v10, v1
	s_nop 0
	v_addc_co_u32_e32 v5, vcc, v5, v9, vcc
	v_mad_u64_u32 v[8:9], s[2:3], v10, v5, 0
	v_mov_b32_e32 v13, v4
	v_lshl_add_u64 v[8:9], v[12:13], 0, v[8:9]
	v_mad_u64_u32 v[14:15], s[2:3], v11, v1, 0
	v_add_co_u32_e32 v1, vcc, v8, v14
	v_mad_u64_u32 v[12:13], s[2:3], v11, v5, 0
	s_nop 0
	v_addc_co_u32_e32 v8, vcc, v9, v15, vcc
	v_mov_b32_e32 v9, v4
	s_nop 0
	v_addc_co_u32_e32 v13, vcc, 0, v13, vcc
	v_lshl_add_u64 v[8:9], v[8:9], 0, v[12:13]
	v_mul_lo_u32 v1, s25, v8
	v_mul_lo_u32 v5, s24, v9
	v_mad_u64_u32 v[12:13], s[2:3], s24, v8, 0
	v_add3_u32 v1, v13, v5, v1
	v_sub_u32_e32 v5, v11, v1
	v_mov_b32_e32 v13, s25
	v_sub_co_u32_e32 v16, vcc, v10, v12
	v_lshl_add_u64 v[14:15], v[8:9], 0, 1
	s_nop 0
	v_subb_co_u32_e64 v5, s[2:3], v5, v13, vcc
	v_subrev_co_u32_e64 v12, s[2:3], s24, v16
	v_subb_co_u32_e32 v1, vcc, v11, v1, vcc
	s_nop 0
	v_subbrev_co_u32_e64 v5, s[2:3], 0, v5, s[2:3]
	v_cmp_le_u32_e64 s[2:3], s25, v5
	v_cmp_le_u32_e32 vcc, s25, v1
	s_nop 0
	v_cndmask_b32_e64 v13, 0, -1, s[2:3]
	v_cmp_le_u32_e64 s[2:3], s24, v12
	s_nop 1
	v_cndmask_b32_e64 v12, 0, -1, s[2:3]
	v_cmp_eq_u32_e64 s[2:3], s25, v5
	s_nop 1
	v_cndmask_b32_e64 v5, v13, v12, s[2:3]
	v_lshl_add_u64 v[12:13], v[8:9], 0, 2
	v_cmp_ne_u32_e64 s[2:3], 0, v5
	s_nop 1
	v_cndmask_b32_e64 v5, v15, v13, s[2:3]
	v_cndmask_b32_e64 v13, 0, -1, vcc
	v_cmp_le_u32_e32 vcc, s24, v16
	s_nop 1
	v_cndmask_b32_e64 v15, 0, -1, vcc
	v_cmp_eq_u32_e32 vcc, s25, v1
	s_nop 1
	v_cndmask_b32_e32 v1, v13, v15, vcc
	v_cmp_ne_u32_e32 vcc, 0, v1
	v_cndmask_b32_e64 v1, v14, v12, s[2:3]
	s_nop 0
	v_cndmask_b32_e32 v9, v9, v5, vcc
	v_cndmask_b32_e32 v8, v8, v1, vcc
.LBB0_4:                                ;   in Loop: Header=BB0_2 Depth=1
	s_andn2_saveexec_b64 s[2:3], s[26:27]
	s_cbranch_execz .LBB0_6
; %bb.5:                                ;   in Loop: Header=BB0_2 Depth=1
	v_cvt_f32_u32_e32 v1, s24
	s_sub_i32 s26, 0, s24
	v_rcp_iflag_f32_e32 v1, v1
	s_nop 0
	v_mul_f32_e32 v1, 0x4f7ffffe, v1
	v_cvt_u32_f32_e32 v1, v1
	v_mul_lo_u32 v5, s26, v1
	v_mul_hi_u32 v5, v1, v5
	v_add_u32_e32 v1, v1, v5
	v_mul_hi_u32 v1, v10, v1
	v_mul_lo_u32 v5, v1, s24
	v_sub_u32_e32 v5, v10, v5
	v_add_u32_e32 v8, 1, v1
	v_subrev_u32_e32 v9, s24, v5
	v_cmp_le_u32_e32 vcc, s24, v5
	s_nop 1
	v_cndmask_b32_e32 v5, v5, v9, vcc
	v_cndmask_b32_e32 v1, v1, v8, vcc
	v_add_u32_e32 v8, 1, v1
	v_cmp_le_u32_e32 vcc, s24, v5
	v_mov_b32_e32 v9, v4
	s_nop 0
	v_cndmask_b32_e32 v8, v1, v8, vcc
.LBB0_6:                                ;   in Loop: Header=BB0_2 Depth=1
	s_or_b64 exec, exec, s[2:3]
	v_mad_u64_u32 v[12:13], s[2:3], v8, s24, 0
	s_load_dwordx2 s[2:3], s[18:19], 0x0
	v_mul_lo_u32 v1, v9, s24
	v_mul_lo_u32 v5, v8, s25
	s_load_dwordx2 s[24:25], s[16:17], 0x0
	s_add_u32 s22, s22, 1
	v_add3_u32 v1, v13, v5, v1
	v_sub_co_u32_e32 v5, vcc, v10, v12
	s_addc_u32 s23, s23, 0
	s_nop 0
	v_subb_co_u32_e32 v1, vcc, v11, v1, vcc
	s_add_u32 s16, s16, 8
	s_waitcnt lgkmcnt(0)
	v_mul_lo_u32 v10, s2, v1
	v_mul_lo_u32 v11, s3, v5
	v_mad_u64_u32 v[2:3], s[2:3], s2, v5, v[2:3]
	s_addc_u32 s17, s17, 0
	v_add3_u32 v3, v11, v3, v10
	v_mul_lo_u32 v1, s24, v1
	v_mul_lo_u32 v10, s25, v5
	v_mad_u64_u32 v[6:7], s[2:3], s24, v5, v[6:7]
	s_add_u32 s18, s18, 8
	v_add3_u32 v7, v10, v7, v1
	s_addc_u32 s19, s19, 0
	v_mov_b64_e32 v[10:11], s[10:11]
	s_add_u32 s20, s20, 8
	v_cmp_ge_u64_e32 vcc, s[22:23], v[10:11]
	s_addc_u32 s21, s21, 0
	s_cbranch_vccnz .LBB0_9
; %bb.7:                                ;   in Loop: Header=BB0_2 Depth=1
	v_mov_b64_e32 v[10:11], v[8:9]
	s_branch .LBB0_2
.LBB0_8:
	v_mov_b64_e32 v[6:7], v[2:3]
	v_mov_b64_e32 v[8:9], v[10:11]
.LBB0_9:
	s_lshl_b64 s[16:17], s[10:11], 3
	s_add_u32 s2, s14, s16
	s_load_dwordx2 s[0:1], s[0:1], 0x28
	s_addc_u32 s3, s15, s17
	s_load_dwordx2 s[2:3], s[2:3], 0x0
	v_mov_b32_e32 v4, 0
	v_mov_b32_e32 v1, 0
	s_waitcnt lgkmcnt(0)
	v_cmp_gt_u64_e32 vcc, s[0:1], v[8:9]
	v_mov_b32_e32 v17, 0
	v_mov_b32_e32 v28, 0
	;; [unrolled: 1-line block ×15, first 2 shown]
                                        ; implicit-def: $vgpr13
                                        ; implicit-def: $vgpr27
                                        ; implicit-def: $vgpr35
                                        ; implicit-def: $vgpr21
                                        ; implicit-def: $vgpr37
                                        ; implicit-def: $vgpr24
                                        ; implicit-def: $vgpr31
                                        ; implicit-def: $vgpr19
                                        ; implicit-def: $vgpr39
                                        ; implicit-def: $vgpr30
                                        ; implicit-def: $vgpr36
                                        ; implicit-def: $vgpr22
                                        ; implicit-def: $vgpr38
                                        ; implicit-def: $vgpr26
                                        ; implicit-def: $vgpr32
                                        ; implicit-def: $vgpr20
	s_and_saveexec_b64 s[10:11], vcc
	s_cbranch_execz .LBB0_13
; %bb.10:
	s_movk_i32 s0, 0x80
	v_cmp_gt_u32_e64 s[0:1], s0, v0
	v_mov_b32_e32 v10, 0
	v_mov_b32_e32 v25, 0
	;; [unrolled: 1-line block ×16, first 2 shown]
                                        ; implicit-def: $vgpr20
                                        ; implicit-def: $vgpr32
                                        ; implicit-def: $vgpr26
                                        ; implicit-def: $vgpr38
                                        ; implicit-def: $vgpr22
                                        ; implicit-def: $vgpr36
                                        ; implicit-def: $vgpr30
                                        ; implicit-def: $vgpr39
                                        ; implicit-def: $vgpr19
                                        ; implicit-def: $vgpr31
                                        ; implicit-def: $vgpr24
                                        ; implicit-def: $vgpr37
                                        ; implicit-def: $vgpr21
                                        ; implicit-def: $vgpr35
                                        ; implicit-def: $vgpr27
                                        ; implicit-def: $vgpr13
	s_and_saveexec_b64 s[14:15], s[0:1]
	s_cbranch_execz .LBB0_12
; %bb.11:
	s_add_u32 s0, s12, s16
	s_addc_u32 s1, s13, s17
	s_load_dwordx2 s[0:1], s[0:1], 0x0
	v_lshlrev_b32_e32 v4, 2, v0
	s_waitcnt lgkmcnt(0)
	v_mul_lo_u32 v1, s1, v8
	v_mul_lo_u32 v5, s0, v9
	v_mad_u64_u32 v[10:11], s[0:1], s0, v8, 0
	v_add3_u32 v11, v11, v5, v1
	v_lshl_add_u64 v[10:11], v[10:11], 2, s[4:5]
	v_mov_b32_e32 v5, 0
	v_lshl_add_u64 v[2:3], v[2:3], 2, v[10:11]
	v_or_b32_e32 v10, 0xc00, v4
	v_mov_b32_e32 v11, v5
	v_lshl_add_u64 v[20:21], v[2:3], 0, v[4:5]
	v_lshl_add_u64 v[22:23], v[2:3], 0, v[10:11]
	v_or_b32_e32 v10, 0xe00, v4
	v_lshl_add_u64 v[24:25], v[2:3], 0, v[10:11]
	global_load_dword v17, v[20:21], off
	global_load_dword v12, v[20:21], off offset:512
	global_load_dword v15, v[20:21], off offset:1024
	;; [unrolled: 1-line block ×5, first 2 shown]
	global_load_dword v16, v[22:23], off
	global_load_dword v10, v[24:25], off
	v_or_b32_e32 v20, 0x1000, v4
	v_mov_b32_e32 v21, v5
	v_lshl_add_u64 v[28:29], v[2:3], 0, v[20:21]
	v_or_b32_e32 v20, 0x1200, v4
	v_lshl_add_u64 v[32:33], v[2:3], 0, v[20:21]
	v_or_b32_e32 v20, 0x1400, v4
	;; [unrolled: 2-line block ×6, first 2 shown]
	v_or_b32_e32 v4, 0x1e00, v4
	v_lshl_add_u64 v[42:43], v[2:3], 0, v[20:21]
	v_lshl_add_u64 v[2:3], v[2:3], 0, v[4:5]
	global_load_dword v27, v[28:29], off
	global_load_dword v21, v[32:33], off
	;; [unrolled: 1-line block ×8, first 2 shown]
	s_waitcnt vmcnt(15)
	v_lshrrev_b32_e32 v4, 16, v17
	s_waitcnt vmcnt(14)
	v_lshrrev_b32_e32 v28, 16, v12
	;; [unrolled: 2-line block ×16, first 2 shown]
.LBB0_12:
	s_or_b64 exec, exec, s[14:15]
	v_mov_b32_e32 v1, v0
.LBB0_13:
	s_or_b64 exec, exec, s[10:11]
	v_sub_f16_e32 v27, v17, v27
	v_sub_f16_e32 v2, v18, v30
	;; [unrolled: 1-line block ×4, first 2 shown]
	v_fma_f16 v17, v17, 2.0, -v27
	v_fma_f16 v18, v18, 2.0, -v2
	v_sub_f16_e32 v37, v33, v37
	v_fma_f16 v15, v15, 2.0, -v30
	v_fma_f16 v16, v16, 2.0, -v26
	v_sub_f16_e32 v21, v12, v21
	v_sub_f16_e32 v35, v28, v35
	;; [unrolled: 1-line block ×7, first 2 shown]
	v_fma_f16 v24, v33, 2.0, -v37
	v_sub_f16_e32 v33, v34, v38
	v_fma_f16 v12, v12, 2.0, -v21
	v_fma_f16 v28, v28, 2.0, -v35
	v_fma_f16 v38, v14, 2.0, -v22
	v_fma_f16 v29, v29, 2.0, -v36
	v_fma_f16 v11, v11, 2.0, -v19
	v_fma_f16 v40, v10, 2.0, -v20
	v_sub_f16_e32 v18, v17, v18
	v_sub_f16_e32 v14, v15, v16
	v_add_f16_e32 v41, v37, v26
	v_sub_f16_e32 v39, v23, v31
	v_sub_f16_e32 v32, v25, v32
	v_fma_f16 v17, v17, 2.0, -v18
	v_sub_f16_e32 v44, v27, v3
	v_fma_f16 v15, v15, 2.0, -v14
	;; [unrolled: 2-line block ×3, first 2 shown]
	v_sub_f16_e32 v16, v12, v38
	v_sub_f16_e32 v26, v28, v29
	;; [unrolled: 1-line block ×3, first 2 shown]
	v_fma_f16 v23, v23, 2.0, -v39
	v_fma_f16 v25, v25, 2.0, -v32
	;; [unrolled: 1-line block ×6, first 2 shown]
	v_sub_f16_e32 v28, v21, v36
	v_fma_f16 v11, v11, 2.0, -v37
	v_sub_f16_e32 v40, v19, v32
	v_sub_f16_e32 v46, v17, v15
	s_mov_b32 s1, 0xb9a8
	v_fma_f16 v34, v34, 2.0, -v33
	v_add_f16_e32 v22, v35, v22
	v_fma_f16 v21, v21, 2.0, -v28
	v_sub_f16_e32 v25, v23, v25
	v_add_f16_e32 v20, v39, v20
	v_fma_f16 v19, v19, 2.0, -v40
	v_fma_f16 v15, v17, 2.0, -v46
	v_fma_f16 v17, v42, s1, v27
	v_sub_f16_e32 v33, v12, v11
	v_sub_f16_e32 v31, v24, v34
	v_fma_f16 v29, v35, 2.0, -v22
	v_fma_f16 v23, v23, 2.0, -v25
	;; [unrolled: 1-line block ×3, first 2 shown]
	s_movk_i32 s0, 0x39a8
	v_fma_f16 v49, v43, s1, v17
	v_fma_f16 v11, v12, 2.0, -v33
	v_fma_f16 v12, v19, s1, v21
	v_fma_f16 v17, v27, 2.0, -v49
	v_fma_f16 v27, v10, s0, v44
	v_sub_f16_e32 v32, v30, v23
	v_fma_f16 v23, v34, s1, v29
	v_fma_f16 v34, v34, s1, v12
	v_sub_f16_e32 v50, v18, v31
	v_fma_f16 v51, v41, s1, v27
	v_fma_f16 v35, v19, s0, v23
	v_fma_f16 v36, v21, 2.0, -v34
	v_sub_f16_e32 v47, v16, v25
	v_fma_f16 v12, v40, s0, v28
	v_sub_f16_e32 v11, v15, v11
	s_mov_b32 s4, 0xbb64
	v_fma_f16 v18, v18, 2.0, -v50
	v_fma_f16 v53, v44, 2.0, -v51
	v_fma_f16 v38, v29, 2.0, -v35
	v_add_f16_e32 v48, v26, v37
	v_fma_f16 v44, v16, 2.0, -v47
	v_fma_f16 v16, v20, s0, v22
	v_fma_f16 v39, v20, s1, v12
	v_fma_f16 v12, v15, 2.0, -v11
	v_fma_f16 v15, v36, s4, v17
	s_mov_b32 s5, 0xb61f
	v_fma_f16 v52, v26, 2.0, -v48
	v_fma_f16 v45, v40, s0, v16
	v_fma_f16 v37, v28, 2.0, -v39
	v_fma_f16 v15, v38, s5, v15
	v_fma_f16 v16, v44, s1, v18
	s_movk_i32 s10, 0x361f
	v_fma_f16 v20, v47, s0, v50
	s_movk_i32 s0, 0x3b64
	v_fma_f16 v40, v22, 2.0, -v45
	v_fma_f16 v29, v17, 2.0, -v15
	v_fma_f16 v16, v52, s1, v16
	v_fma_f16 v17, v37, s5, v53
	;; [unrolled: 1-line block ×4, first 2 shown]
	v_fma_f16 v27, v18, 2.0, -v16
	v_fma_f16 v17, v40, s4, v17
	v_sub_f16_e32 v18, v46, v32
	v_fma_f16 v19, v35, s4, v19
	v_fma_f16 v20, v48, s1, v20
	;; [unrolled: 1-line block ×3, first 2 shown]
	s_movk_i32 s0, 0x80
	v_fma_f16 v25, v53, 2.0, -v17
	v_fma_f16 v28, v46, 2.0, -v18
	;; [unrolled: 1-line block ×5, first 2 shown]
	v_cmp_gt_u32_e64 s[0:1], s0, v0
	v_lshl_add_u32 v46, v0, 5, 0
	s_and_saveexec_b64 s[4:5], s[0:1]
	s_cbranch_execz .LBB0_15
; %bb.14:
	s_mov_b32 s10, 0x5040100
	v_perm_b32 v49, v25, v27, s10
	v_perm_b32 v50, v29, v12, s10
	ds_write2_b32 v46, v50, v49 offset1:1
	v_perm_b32 v49, v26, v22, s10
	v_perm_b32 v50, v23, v28, s10
	ds_write2_b32 v46, v50, v49 offset0:2 offset1:3
	v_perm_b32 v49, v17, v16, s10
	v_perm_b32 v50, v15, v11, s10
	ds_write2_b32 v46, v50, v49 offset0:4 offset1:5
	;; [unrolled: 3-line block ×3, first 2 shown]
.LBB0_15:
	s_or_b64 exec, exec, s[4:5]
	v_mul_f16_e32 v50, 0x39a8, v42
	v_mul_f16_e32 v51, 0x39a8, v43
	;; [unrolled: 1-line block ×8, first 2 shown]
	v_lshl_add_u32 v10, v0, 1, 0
	v_lshlrev_b32_e32 v42, 1, v0
	s_waitcnt lgkmcnt(0)
	s_barrier
	s_and_saveexec_b64 s[4:5], s[0:1]
	s_cbranch_execz .LBB0_17
; %bb.16:
	v_add_u32_e32 v20, 0, v42
	v_or_b32_e32 v11, 0x700, v42
	ds_read_u16 v29, v10 offset:256
	ds_read_u16 v27, v10 offset:512
	;; [unrolled: 1-line block ×4, first 2 shown]
	v_add_u32_e32 v26, 0, v11
	ds_read_u16 v28, v10 offset:1024
	ds_read_u16 v23, v10 offset:1280
	;; [unrolled: 1-line block ×8, first 2 shown]
	v_or_b32_e32 v12, 0xf00, v42
	v_add_u32_e32 v21, 0, v12
	ds_read_u16 v12, v10
	ds_read_u16 v21, v21
	;; [unrolled: 1-line block ×3, first 2 shown]
	ds_read_u16 v20, v20 offset:3584
.LBB0_17:
	s_or_b64 exec, exec, s[4:5]
	v_sub_f16_e32 v13, v4, v13
	v_fma_f16 v4, v4, 2.0, -v13
	v_fma_f16 v3, v5, 2.0, -v3
	v_sub_f16_e32 v3, v4, v3
	v_add_f16_e32 v2, v13, v2
	v_fma_f16 v4, v4, 2.0, -v3
	v_fma_f16 v5, v13, 2.0, -v2
	;; [unrolled: 1-line block ×3, first 2 shown]
	v_sub_f16_e32 v24, v4, v13
	v_sub_f16_e32 v13, v5, v51
	v_add_f16_e32 v50, v50, v13
	v_add_f16_e32 v13, v2, v49
	v_fma_f16 v4, v4, 2.0, -v24
	v_add_f16_e32 v49, v43, v13
	v_fma_f16 v13, v30, 2.0, -v32
	v_fma_f16 v5, v5, 2.0, -v50
	v_add_f16_e32 v51, v3, v14
	v_sub_f16_e32 v13, v4, v13
	s_mov_b32 s4, 0xbb64
	v_fma_f16 v3, v3, 2.0, -v51
	v_fma_f16 v14, v4, 2.0, -v13
	v_fma_f16 v4, v38, s4, v5
	s_movk_i32 s4, 0x361f
	v_fma_f16 v30, v36, s4, v4
	v_sub_f16_e32 v4, v3, v44
	v_fma_f16 v2, v2, 2.0, -v49
	v_add_f16_e32 v31, v41, v4
	s_mov_b32 s5, 0xb61f
	v_fma_f16 v41, v3, 2.0, -v31
	v_fma_f16 v3, v40, s5, v2
	s_movk_i32 s5, 0x3b64
	v_fma_f16 v32, v37, s5, v3
	v_fma_f16 v40, v2, 2.0, -v32
	v_fma_f16 v2, v35, s4, v50
	v_fma_f16 v34, v34, s5, v2
	v_add_f16_e32 v2, v51, v48
	v_add_f16_e32 v36, v47, v2
	v_fma_f16 v2, v45, s5, v49
	v_add_f16_e32 v33, v24, v33
	v_fma_f16 v35, v39, s4, v2
	v_fma_f16 v43, v5, 2.0, -v30
	v_fma_f16 v44, v24, 2.0, -v33
	v_fma_f16 v38, v50, 2.0, -v34
	v_fma_f16 v37, v51, 2.0, -v36
	v_fma_f16 v39, v49, 2.0, -v35
	s_waitcnt lgkmcnt(0)
	s_barrier
	s_and_saveexec_b64 s[4:5], s[0:1]
	s_cbranch_execz .LBB0_19
; %bb.18:
	s_mov_b32 s10, 0x5040100
	v_perm_b32 v2, v40, v41, s10
	v_perm_b32 v3, v43, v14, s10
	ds_write2_b32 v46, v3, v2 offset1:1
	v_perm_b32 v2, v39, v37, s10
	v_perm_b32 v3, v38, v44, s10
	ds_write2_b32 v46, v3, v2 offset0:2 offset1:3
	v_perm_b32 v2, v32, v31, s10
	v_perm_b32 v3, v30, v13, s10
	ds_write2_b32 v46, v3, v2 offset0:4 offset1:5
	;; [unrolled: 3-line block ×3, first 2 shown]
.LBB0_19:
	s_or_b64 exec, exec, s[4:5]
	s_waitcnt lgkmcnt(0)
	s_barrier
	s_and_saveexec_b64 s[4:5], s[0:1]
	s_cbranch_execz .LBB0_21
; %bb.20:
	v_add_u32_e32 v2, 0, v42
	ds_read_u16 v43, v10 offset:256
	ds_read_u16 v41, v10 offset:512
	;; [unrolled: 1-line block ×12, first 2 shown]
	v_or_b32_e32 v3, 0x700, v42
	v_or_b32_e32 v4, 0xf00, v42
	v_add_u32_e32 v3, 0, v3
	v_add_u32_e32 v4, 0, v4
	ds_read_u16 v14, v10
	ds_read_u16 v35, v4
	;; [unrolled: 1-line block ×3, first 2 shown]
	ds_read_u16 v36, v2 offset:3584
.LBB0_21:
	s_or_b64 exec, exec, s[4:5]
	v_and_b32_e32 v24, 15, v0
	v_mul_u32_u24_e32 v2, 15, v24
	v_lshlrev_b32_e32 v42, 2, v2
	global_load_dwordx4 v[46:49], v42, s[8:9]
	global_load_dwordx4 v[2:5], v42, s[8:9] offset:16
	global_load_dwordx4 v[50:53], v42, s[8:9] offset:32
	global_load_dwordx3 v[54:56], v42, s[8:9] offset:48
	s_mov_b32 s5, 0xb9a8
	s_movk_i32 s4, 0x39a8
	s_waitcnt lgkmcnt(0)
	s_barrier
	s_waitcnt vmcnt(3)
	v_mul_f16_sdwa v42, v43, v46 dst_sel:DWORD dst_unused:UNUSED_PAD src0_sel:DWORD src1_sel:WORD_1
	v_mul_f16_sdwa v45, v29, v46 dst_sel:DWORD dst_unused:UNUSED_PAD src0_sel:DWORD src1_sel:WORD_1
	;; [unrolled: 1-line block ×8, first 2 shown]
	v_fma_f16 v29, v29, v46, -v42
	s_waitcnt vmcnt(2)
	v_mul_f16_sdwa v42, v38, v2 dst_sel:DWORD dst_unused:UNUSED_PAD src0_sel:DWORD src1_sel:WORD_1
	v_fma_f16 v43, v43, v46, v45
	v_fma_f16 v46, v27, v47, -v57
	v_fma_f16 v27, v28, v49, -v61
	s_waitcnt vmcnt(1)
	v_mul_f16_sdwa v28, v30, v50 dst_sel:DWORD dst_unused:UNUSED_PAD src0_sel:DWORD src1_sel:WORD_1
	v_mul_f16_sdwa v45, v23, v2 dst_sel:DWORD dst_unused:UNUSED_PAD src0_sel:DWORD src1_sel:WORD_1
	;; [unrolled: 1-line block ×3, first 2 shown]
	v_fma_f16 v41, v41, v47, v58
	v_mul_f16_sdwa v47, v22, v3 dst_sel:DWORD dst_unused:UNUSED_PAD src0_sel:DWORD src1_sel:WORD_1
	v_fma_f16 v58, v25, v48, -v59
	v_mul_f16_sdwa v59, v39, v4 dst_sel:DWORD dst_unused:UNUSED_PAD src0_sel:DWORD src1_sel:WORD_1
	v_fma_f16 v40, v40, v48, v60
	v_fma_f16 v25, v44, v49, v62
	v_mul_f16_sdwa v44, v15, v50 dst_sel:DWORD dst_unused:UNUSED_PAD src0_sel:DWORD src1_sel:WORD_1
	v_mul_f16_sdwa v60, v16, v51 dst_sel:DWORD dst_unused:UNUSED_PAD src0_sel:DWORD src1_sel:WORD_1
	;; [unrolled: 1-line block ×3, first 2 shown]
	v_fma_f16 v23, v23, v2, -v42
	v_mul_f16_sdwa v42, v33, v53 dst_sel:DWORD dst_unused:UNUSED_PAD src0_sel:DWORD src1_sel:WORD_1
	v_fma_f16 v15, v15, v50, -v28
	s_waitcnt vmcnt(0)
	v_mul_f16_sdwa v28, v35, v56 dst_sel:DWORD dst_unused:UNUSED_PAD src0_sel:DWORD src1_sel:WORD_1
	v_mul_f16_sdwa v48, v26, v4 dst_sel:DWORD dst_unused:UNUSED_PAD src0_sel:DWORD src1_sel:WORD_1
	;; [unrolled: 1-line block ×4, first 2 shown]
	v_fma_f16 v38, v38, v2, v45
	v_mul_f16_sdwa v2, v18, v53 dst_sel:DWORD dst_unused:UNUSED_PAD src0_sel:DWORD src1_sel:WORD_1
	v_fma_f16 v22, v22, v3, -v57
	v_fma_f16 v37, v37, v3, v47
	v_mul_f16_sdwa v3, v19, v54 dst_sel:DWORD dst_unused:UNUSED_PAD src0_sel:DWORD src1_sel:WORD_1
	v_fma_f16 v26, v26, v4, -v59
	v_fma_f16 v30, v30, v50, v44
	v_mul_f16_sdwa v44, v21, v56 dst_sel:DWORD dst_unused:UNUSED_PAD src0_sel:DWORD src1_sel:WORD_1
	v_fma_f16 v31, v31, v51, v60
	v_fma_f16 v17, v17, v52, -v61
	v_fma_f16 v18, v18, v53, -v42
	;; [unrolled: 1-line block ×3, first 2 shown]
	v_mul_f16_sdwa v45, v34, v54 dst_sel:DWORD dst_unused:UNUSED_PAD src0_sel:DWORD src1_sel:WORD_1
	v_mul_f16_sdwa v47, v36, v55 dst_sel:DWORD dst_unused:UNUSED_PAD src0_sel:DWORD src1_sel:WORD_1
	v_fma_f16 v39, v39, v4, v48
	v_mul_f16_sdwa v4, v20, v55 dst_sel:DWORD dst_unused:UNUSED_PAD src0_sel:DWORD src1_sel:WORD_1
	v_fma_f16 v2, v33, v53, v2
	v_fma_f16 v33, v34, v54, v3
	;; [unrolled: 1-line block ×3, first 2 shown]
	v_sub_f16_e32 v3, v27, v18
	v_sub_f16_e32 v18, v41, v31
	;; [unrolled: 1-line block ×4, first 2 shown]
	v_fma_f16 v16, v16, v51, -v49
	v_fma_f16 v32, v32, v52, v62
	v_fma_f16 v19, v19, v54, -v45
	v_fma_f16 v20, v20, v55, -v47
	v_fma_f16 v34, v36, v55, v4
	v_fma_f16 v21, v41, 2.0, -v18
	v_fma_f16 v41, v58, 2.0, -v17
	;; [unrolled: 1-line block ×3, first 2 shown]
	v_sub_f16_e32 v16, v46, v16
	v_sub_f16_e32 v20, v22, v20
	;; [unrolled: 1-line block ×10, first 2 shown]
	v_fma_f16 v15, v22, 2.0, -v20
	v_fma_f16 v28, v37, 2.0, -v31
	;; [unrolled: 1-line block ×8, first 2 shown]
	v_sub_f16_e32 v31, v16, v31
	v_add_f16_e32 v20, v18, v20
	v_sub_f16_e32 v33, v34, v33
	v_add_f16_e32 v19, v30, v19
	v_fma_f16 v26, v41, 2.0, -v45
	v_sub_f16_e32 v41, v17, v36
	v_add_f16_e32 v47, v32, v35
	v_sub_f16_e32 v4, v25, v2
	v_fma_f16 v2, v46, 2.0, -v16
	v_fma_f16 v16, v16, 2.0, -v31
	;; [unrolled: 1-line block ×3, first 2 shown]
	v_sub_f16_e32 v44, v29, v23
	v_sub_f16_e32 v38, v37, v38
	v_fma_f16 v34, v34, 2.0, -v33
	v_fma_f16 v42, v30, 2.0, -v19
	v_sub_f16_e32 v46, v40, v39
	v_fma_f16 v17, v17, 2.0, -v41
	v_fma_f16 v30, v32, 2.0, -v47
	;; [unrolled: 3-line block ×3, first 2 shown]
	v_fma_f16 v29, v40, 2.0, -v46
	v_mul_f16_e32 v40, 0x39a8, v16
	v_mul_f16_e32 v43, 0x39a8, v18
	v_fma_f16 v16, v17, s5, v34
	v_fma_f16 v18, v30, s5, v42
	v_mul_f16_e32 v35, 0x39a8, v31
	v_sub_f16_e32 v36, v23, v29
	v_fma_f16 v29, v30, s5, v16
	v_fma_f16 v30, v17, s4, v18
	v_sub_f16_e32 v16, v44, v46
	v_add_f16_e32 v17, v38, v45
	v_fma_f16 v31, v41, s4, v33
	v_fma_f16 v32, v47, s4, v19
	v_mul_f16_e32 v39, 0x39a8, v20
	v_fma_f16 v18, v44, 2.0, -v16
	v_fma_f16 v20, v38, 2.0, -v17
	v_fma_f16 v31, v47, s5, v31
	v_fma_f16 v32, v41, s4, v32
	v_sub_f16_e32 v28, v21, v28
	v_sub_f16_e32 v26, v15, v26
	v_fma_f16 v37, v34, 2.0, -v29
	v_fma_f16 v42, v42, 2.0, -v30
	;; [unrolled: 1-line block ×4, first 2 shown]
	v_mul_f16_e32 v45, 0x39a8, v18
	v_mul_f16_e32 v46, 0x39a8, v20
	v_mul_f16_e32 v34, 0x39a8, v16
	v_mul_f16_e32 v38, 0x39a8, v17
	v_lshlrev_b32_e32 v33, 4, v0
	s_and_saveexec_b64 s[4:5], s[0:1]
	s_cbranch_execz .LBB0_23
; %bb.22:
	v_mul_f16_sdwa v16, v13, v5 dst_sel:DWORD dst_unused:UNUSED_PAD src0_sel:DWORD src1_sel:WORD_1
	v_fma_f16 v16, v11, v5, -v16
	v_sub_f16_e32 v16, v12, v16
	v_sub_f16_e32 v17, v16, v4
	v_add_f16_e32 v18, v17, v35
	v_sub_f16_e32 v18, v18, v39
	v_fma_f16 v19, v17, 2.0, -v18
	v_fma_f16 v17, v16, 2.0, -v17
	v_sub_f16_e32 v47, v17, v40
	v_fma_f16 v12, v12, 2.0, -v16
	v_fma_f16 v16, v27, 2.0, -v3
	v_sub_f16_e32 v47, v47, v43
	s_movk_i32 s12, 0x361f
	v_sub_f16_e32 v16, v12, v16
	s_mov_b32 s11, 0xbb64
	v_fma_f16 v48, v29, s12, v47
	v_fma_f16 v12, v12, 2.0, -v16
	v_fma_f16 v2, v2, 2.0, -v22
	v_fma_f16 v48, v30, s11, v48
	s_movk_i32 s12, 0x3b64
	v_sub_f16_e32 v27, v16, v28
	v_sub_f16_e32 v2, v12, v2
	v_fma_f16 v17, v17, 2.0, -v47
	s_mov_b32 s10, 0xb61f
	v_fma_f16 v49, v31, s12, v18
	v_add_f16_e32 v50, v27, v34
	v_fma_f16 v51, v47, 2.0, -v48
	v_fma_f16 v52, v16, 2.0, -v27
	v_sub_f16_e32 v16, v2, v36
	v_fma_f16 v47, v37, s11, v17
	v_fma_f16 v20, v41, s10, v19
	v_fma_f16 v49, v32, s10, v49
	v_sub_f16_e32 v50, v50, v38
	v_fma_f16 v54, v2, 2.0, -v16
	v_fma_f16 v47, v42, s10, v47
	v_fma_f16 v2, v12, 2.0, -v2
	v_fma_f16 v12, v15, 2.0, -v26
	s_movk_i32 s10, 0x700
	v_sub_f16_e32 v53, v52, v45
	v_sub_f16_e32 v12, v2, v12
	v_fma_f16 v15, v27, 2.0, -v50
	v_and_or_b32 v27, v33, s10, v24
	v_fma_f16 v20, v44, s11, v20
	v_sub_f16_e32 v53, v53, v46
	v_fma_f16 v2, v2, 2.0, -v12
	v_lshl_add_u32 v27, v27, 1, 0
	v_fma_f16 v18, v18, 2.0, -v49
	v_fma_f16 v19, v19, 2.0, -v20
	;; [unrolled: 1-line block ×4, first 2 shown]
	ds_write_b16 v27, v2
	ds_write_b16 v27, v17 offset:32
	ds_write_b16 v27, v52 offset:64
	ds_write_b16 v27, v19 offset:96
	ds_write_b16 v27, v54 offset:128
	ds_write_b16 v27, v51 offset:160
	ds_write_b16 v27, v15 offset:192
	ds_write_b16 v27, v18 offset:224
	ds_write_b16 v27, v12 offset:256
	ds_write_b16 v27, v47 offset:288
	ds_write_b16 v27, v53 offset:320
	ds_write_b16 v27, v20 offset:352
	ds_write_b16 v27, v16 offset:384
	ds_write_b16 v27, v48 offset:416
	ds_write_b16 v27, v50 offset:448
	ds_write_b16 v27, v49 offset:480
.LBB0_23:
	s_or_b64 exec, exec, s[4:5]
	s_waitcnt lgkmcnt(0)
	s_barrier
	ds_read_u16 v2, v10
	ds_read_u16 v18, v10 offset:512
	ds_read_u16 v12, v10 offset:1024
	;; [unrolled: 1-line block ×7, first 2 shown]
	s_waitcnt lgkmcnt(0)
	s_barrier
	s_and_saveexec_b64 s[4:5], s[0:1]
	s_cbranch_execz .LBB0_25
; %bb.24:
	v_mul_f16_sdwa v11, v11, v5 dst_sel:DWORD dst_unused:UNUSED_PAD src0_sel:DWORD src1_sel:WORD_1
	v_fma_f16 v5, v13, v5, v11
	v_sub_f16_e32 v5, v14, v5
	v_fma_f16 v11, v14, 2.0, -v5
	v_fma_f16 v4, v25, 2.0, -v4
	v_sub_f16_e32 v4, v11, v4
	v_add_f16_e32 v3, v5, v3
	v_fma_f16 v5, v5, 2.0, -v3
	v_fma_f16 v13, v21, 2.0, -v28
	v_add_f16_e32 v21, v4, v22
	v_add_f16_e32 v22, v3, v39
	v_sub_f16_e32 v14, v5, v43
	v_add_f16_e32 v22, v35, v22
	v_add_f16_e32 v14, v40, v14
	v_fma_f16 v3, v3, 2.0, -v22
	s_mov_b32 s1, 0xb61f
	v_fma_f16 v11, v11, 2.0, -v4
	v_fma_f16 v5, v5, 2.0, -v14
	s_mov_b32 s0, 0xbb64
	v_fma_f16 v28, v44, s1, v3
	s_movk_i32 s1, 0x3b64
	v_sub_f16_e32 v13, v11, v13
	v_fma_f16 v25, v42, s0, v5
	s_movk_i32 s0, 0x361f
	v_fma_f16 v32, v32, s1, v22
	v_fma_f16 v11, v11, 2.0, -v13
	v_fma_f16 v4, v4, 2.0, -v21
	;; [unrolled: 1-line block ×3, first 2 shown]
	v_fma_f16 v25, v37, s0, v25
	v_fma_f16 v30, v30, s0, v14
	;; [unrolled: 1-line block ×3, first 2 shown]
	s_movk_i32 s0, 0x700
	v_sub_f16_e32 v23, v11, v23
	v_sub_f16_e32 v27, v4, v46
	v_fma_f16 v29, v29, s1, v30
	v_add_f16_e32 v30, v21, v38
	v_and_or_b32 v24, v33, s0, v24
	v_fma_f16 v11, v11, 2.0, -v23
	v_add_f16_e32 v27, v45, v27
	v_fma_f16 v28, v41, s1, v28
	v_add_f16_e32 v26, v13, v26
	v_add_f16_e32 v30, v34, v30
	v_lshl_add_u32 v24, v24, 1, 0
	v_fma_f16 v5, v5, 2.0, -v25
	v_fma_f16 v4, v4, 2.0, -v27
	;; [unrolled: 1-line block ×7, first 2 shown]
	ds_write_b16 v24, v11
	ds_write_b16 v24, v5 offset:32
	ds_write_b16 v24, v4 offset:64
	;; [unrolled: 1-line block ×15, first 2 shown]
.LBB0_25:
	s_or_b64 exec, exec, s[4:5]
	s_waitcnt lgkmcnt(0)
	s_barrier
	s_and_saveexec_b64 s[0:1], vcc
	s_cbranch_execz .LBB0_27
; %bb.26:
	v_mul_u32_u24_e32 v0, 7, v0
	v_lshlrev_b32_e32 v0, 2, v0
	global_load_dwordx4 v[22:25], v0, s[8:9] offset:960
	global_load_dwordx3 v[26:28], v0, s[8:9] offset:976
	v_mul_lo_u32 v0, s3, v8
	v_mul_lo_u32 v3, s2, v9
	v_mad_u64_u32 v[4:5], s[0:1], s2, v8, 0
	ds_read_u16 v8, v10 offset:3584
	ds_read_u16 v9, v10 offset:3072
	;; [unrolled: 1-line block ×7, first 2 shown]
	ds_read_u16 v10, v10
	v_add3_u32 v5, v5, v3, v0
	s_movk_i32 s0, 0x39a8
	s_mov_b32 s1, 0xb9a8
	s_waitcnt vmcnt(1) lgkmcnt(4)
	v_mul_f16_sdwa v0, v13, v25 dst_sel:DWORD dst_unused:UNUSED_PAD src0_sel:DWORD src1_sel:WORD_1
	v_mul_f16_sdwa v3, v12, v23 dst_sel:DWORD dst_unused:UNUSED_PAD src0_sel:DWORD src1_sel:WORD_1
	s_waitcnt vmcnt(0)
	v_mul_f16_sdwa v30, v15, v27 dst_sel:DWORD dst_unused:UNUSED_PAD src0_sel:DWORD src1_sel:WORD_1
	s_waitcnt lgkmcnt(1)
	v_mul_f16_sdwa v31, v29, v22 dst_sel:DWORD dst_unused:UNUSED_PAD src0_sel:DWORD src1_sel:WORD_1
	v_mul_f16_sdwa v32, v11, v26 dst_sel:DWORD dst_unused:UNUSED_PAD src0_sel:DWORD src1_sel:WORD_1
	v_mul_f16_sdwa v33, v16, v24 dst_sel:DWORD dst_unused:UNUSED_PAD src0_sel:DWORD src1_sel:WORD_1
	v_mul_f16_sdwa v34, v17, v28 dst_sel:DWORD dst_unused:UNUSED_PAD src0_sel:DWORD src1_sel:WORD_1
	v_mul_f16_sdwa v35, v18, v22 dst_sel:DWORD dst_unused:UNUSED_PAD src0_sel:DWORD src1_sel:WORD_1
	v_mul_f16_sdwa v36, v19, v26 dst_sel:DWORD dst_unused:UNUSED_PAD src0_sel:DWORD src1_sel:WORD_1
	v_mul_f16_sdwa v37, v14, v24 dst_sel:DWORD dst_unused:UNUSED_PAD src0_sel:DWORD src1_sel:WORD_1
	v_mul_f16_sdwa v38, v8, v28 dst_sel:DWORD dst_unused:UNUSED_PAD src0_sel:DWORD src1_sel:WORD_1
	v_mul_f16_sdwa v39, v20, v25 dst_sel:DWORD dst_unused:UNUSED_PAD src0_sel:DWORD src1_sel:WORD_1
	v_mul_f16_sdwa v40, v21, v23 dst_sel:DWORD dst_unused:UNUSED_PAD src0_sel:DWORD src1_sel:WORD_1
	v_mul_f16_sdwa v41, v9, v27 dst_sel:DWORD dst_unused:UNUSED_PAD src0_sel:DWORD src1_sel:WORD_1
	v_fma_f16 v0, v20, v25, -v0
	v_fma_f16 v3, v21, v23, v3
	v_fma_f16 v9, v9, v27, v30
	v_fma_f16 v18, v18, v22, -v31
	v_fma_f16 v19, v19, v26, -v32
	v_fma_f16 v14, v14, v24, v33
	v_fma_f16 v8, v8, v28, v34
	;; [unrolled: 1-line block ×4, first 2 shown]
	v_fma_f16 v16, v16, v24, -v37
	v_fma_f16 v17, v17, v28, -v38
	v_fma_f16 v13, v25, v13, v39
	v_fma_f16 v12, v12, v23, -v40
	v_fma_f16 v15, v15, v27, -v41
	v_sub_f16_e32 v0, v2, v0
	v_sub_f16_e32 v9, v3, v9
	;; [unrolled: 1-line block ×6, first 2 shown]
	s_waitcnt lgkmcnt(0)
	v_sub_f16_e32 v13, v10, v13
	v_sub_f16_e32 v15, v12, v15
	v_sub_f16_e32 v21, v0, v9
	v_sub_f16_e32 v22, v19, v8
	v_add_f16_e32 v23, v11, v17
	v_add_f16_e32 v24, v15, v13
	v_fma_f16 v2, v2, 2.0, -v0
	v_fma_f16 v8, v14, 2.0, -v8
	v_fma_f16 v3, v3, 2.0, -v9
	v_fma_f16 v9, v18, 2.0, -v19
	v_fma_f16 v14, v16, 2.0, -v17
	v_fma_f16 v17, v23, s0, v24
	v_fma_f16 v0, v0, 2.0, -v21
	v_fma_f16 v18, v19, 2.0, -v22
	;; [unrolled: 1-line block ×5, first 2 shown]
	v_fma_f16 v16, v22, s0, v21
	v_fma_f16 v11, v11, 2.0, -v23
	v_fma_f16 v13, v13, 2.0, -v24
	v_fma_f16 v17, v22, s0, v17
	v_fma_f16 v22, v18, s1, v0
	v_sub_f16_e32 v12, v2, v12
	v_sub_f16_e32 v14, v9, v14
	v_fma_f16 v16, v23, s1, v16
	v_fma_f16 v23, v11, s1, v13
	;; [unrolled: 1-line block ×3, first 2 shown]
	v_sub_f16_e32 v8, v15, v8
	v_sub_f16_e32 v3, v10, v3
	v_fma_f16 v2, v2, 2.0, -v12
	v_fma_f16 v22, v0, 2.0, -v11
	;; [unrolled: 1-line block ×3, first 2 shown]
	v_sub_f16_e32 v19, v12, v8
	v_add_f16_e32 v20, v3, v14
	v_sub_f16_e32 v9, v2, v0
	v_fma_f16 v0, v10, 2.0, -v3
	v_fma_f16 v8, v15, 2.0, -v8
	v_sub_f16_e32 v8, v0, v8
	v_fma_f16 v10, v12, 2.0, -v19
	v_fma_f16 v12, v3, 2.0, -v20
	v_fma_f16 v14, v2, 2.0, -v9
	v_lshl_add_u64 v[2:3], v[4:5], 2, s[6:7]
	v_fma_f16 v18, v18, s0, v23
	v_fma_f16 v15, v0, 2.0, -v8
	v_lshl_add_u64 v[2:3], v[6:7], 2, v[2:3]
	v_lshlrev_b32_e32 v0, 2, v1
	v_mov_b32_e32 v1, 0
	v_fma_f16 v13, v13, 2.0, -v18
	v_lshl_add_u64 v[4:5], v[2:3], 0, v[0:1]
	v_pack_b32_f16 v6, v14, v15
	global_store_dword v[4:5], v6, off
	v_pack_b32_f16 v6, v22, v13
	v_fma_f16 v21, v21, 2.0, -v16
	v_fma_f16 v24, v24, 2.0, -v17
	global_store_dword v[4:5], v6, off offset:1024
	v_pack_b32_f16 v6, v10, v12
	global_store_dword v[4:5], v6, off offset:2048
	v_pack_b32_f16 v6, v21, v24
	global_store_dword v[4:5], v6, off offset:3072
	v_or_b32_e32 v4, 0x1000, v0
	v_mov_b32_e32 v5, v1
	v_lshl_add_u64 v[4:5], v[2:3], 0, v[4:5]
	v_pack_b32_f16 v6, v9, v8
	global_store_dword v[4:5], v6, off
	v_or_b32_e32 v4, 0x1400, v0
	v_mov_b32_e32 v5, v1
	v_lshl_add_u64 v[4:5], v[2:3], 0, v[4:5]
	v_pack_b32_f16 v6, v11, v18
	global_store_dword v[4:5], v6, off
	v_or_b32_e32 v4, 0x1800, v0
	v_mov_b32_e32 v5, v1
	v_or_b32_e32 v0, 0x1c00, v0
	v_lshl_add_u64 v[4:5], v[2:3], 0, v[4:5]
	v_pack_b32_f16 v6, v19, v20
	v_lshl_add_u64 v[0:1], v[2:3], 0, v[0:1]
	v_pack_b32_f16 v2, v16, v17
	global_store_dword v[4:5], v6, off
	global_store_dword v[0:1], v2, off
.LBB0_27:
	s_endpgm
	.section	.rodata,"a",@progbits
	.p2align	6, 0x0
	.amdhsa_kernel fft_rtc_fwd_len2048_factors_16_16_8_wgs_256_tpt_256_halfLds_half_op_CI_CI_unitstride_sbrr_dirReg
		.amdhsa_group_segment_fixed_size 0
		.amdhsa_private_segment_fixed_size 0
		.amdhsa_kernarg_size 104
		.amdhsa_user_sgpr_count 2
		.amdhsa_user_sgpr_dispatch_ptr 0
		.amdhsa_user_sgpr_queue_ptr 0
		.amdhsa_user_sgpr_kernarg_segment_ptr 1
		.amdhsa_user_sgpr_dispatch_id 0
		.amdhsa_user_sgpr_kernarg_preload_length 0
		.amdhsa_user_sgpr_kernarg_preload_offset 0
		.amdhsa_user_sgpr_private_segment_size 0
		.amdhsa_uses_dynamic_stack 0
		.amdhsa_enable_private_segment 0
		.amdhsa_system_sgpr_workgroup_id_x 1
		.amdhsa_system_sgpr_workgroup_id_y 0
		.amdhsa_system_sgpr_workgroup_id_z 0
		.amdhsa_system_sgpr_workgroup_info 0
		.amdhsa_system_vgpr_workitem_id 0
		.amdhsa_next_free_vgpr 63
		.amdhsa_next_free_sgpr 28
		.amdhsa_accum_offset 64
		.amdhsa_reserve_vcc 1
		.amdhsa_float_round_mode_32 0
		.amdhsa_float_round_mode_16_64 0
		.amdhsa_float_denorm_mode_32 3
		.amdhsa_float_denorm_mode_16_64 3
		.amdhsa_dx10_clamp 1
		.amdhsa_ieee_mode 1
		.amdhsa_fp16_overflow 0
		.amdhsa_tg_split 0
		.amdhsa_exception_fp_ieee_invalid_op 0
		.amdhsa_exception_fp_denorm_src 0
		.amdhsa_exception_fp_ieee_div_zero 0
		.amdhsa_exception_fp_ieee_overflow 0
		.amdhsa_exception_fp_ieee_underflow 0
		.amdhsa_exception_fp_ieee_inexact 0
		.amdhsa_exception_int_div_zero 0
	.end_amdhsa_kernel
	.text
.Lfunc_end0:
	.size	fft_rtc_fwd_len2048_factors_16_16_8_wgs_256_tpt_256_halfLds_half_op_CI_CI_unitstride_sbrr_dirReg, .Lfunc_end0-fft_rtc_fwd_len2048_factors_16_16_8_wgs_256_tpt_256_halfLds_half_op_CI_CI_unitstride_sbrr_dirReg
                                        ; -- End function
	.section	.AMDGPU.csdata,"",@progbits
; Kernel info:
; codeLenInByte = 6564
; NumSgprs: 34
; NumVgprs: 63
; NumAgprs: 0
; TotalNumVgprs: 63
; ScratchSize: 0
; MemoryBound: 0
; FloatMode: 240
; IeeeMode: 1
; LDSByteSize: 0 bytes/workgroup (compile time only)
; SGPRBlocks: 4
; VGPRBlocks: 7
; NumSGPRsForWavesPerEU: 34
; NumVGPRsForWavesPerEU: 63
; AccumOffset: 64
; Occupancy: 8
; WaveLimiterHint : 1
; COMPUTE_PGM_RSRC2:SCRATCH_EN: 0
; COMPUTE_PGM_RSRC2:USER_SGPR: 2
; COMPUTE_PGM_RSRC2:TRAP_HANDLER: 0
; COMPUTE_PGM_RSRC2:TGID_X_EN: 1
; COMPUTE_PGM_RSRC2:TGID_Y_EN: 0
; COMPUTE_PGM_RSRC2:TGID_Z_EN: 0
; COMPUTE_PGM_RSRC2:TIDIG_COMP_CNT: 0
; COMPUTE_PGM_RSRC3_GFX90A:ACCUM_OFFSET: 15
; COMPUTE_PGM_RSRC3_GFX90A:TG_SPLIT: 0
	.text
	.p2alignl 6, 3212836864
	.fill 256, 4, 3212836864
	.type	__hip_cuid_15226bd7121de021,@object ; @__hip_cuid_15226bd7121de021
	.section	.bss,"aw",@nobits
	.globl	__hip_cuid_15226bd7121de021
__hip_cuid_15226bd7121de021:
	.byte	0                               ; 0x0
	.size	__hip_cuid_15226bd7121de021, 1

	.ident	"AMD clang version 19.0.0git (https://github.com/RadeonOpenCompute/llvm-project roc-6.4.0 25133 c7fe45cf4b819c5991fe208aaa96edf142730f1d)"
	.section	".note.GNU-stack","",@progbits
	.addrsig
	.addrsig_sym __hip_cuid_15226bd7121de021
	.amdgpu_metadata
---
amdhsa.kernels:
  - .agpr_count:     0
    .args:
      - .actual_access:  read_only
        .address_space:  global
        .offset:         0
        .size:           8
        .value_kind:     global_buffer
      - .offset:         8
        .size:           8
        .value_kind:     by_value
      - .actual_access:  read_only
        .address_space:  global
        .offset:         16
        .size:           8
        .value_kind:     global_buffer
      - .actual_access:  read_only
        .address_space:  global
        .offset:         24
        .size:           8
        .value_kind:     global_buffer
      - .actual_access:  read_only
        .address_space:  global
        .offset:         32
        .size:           8
        .value_kind:     global_buffer
      - .offset:         40
        .size:           8
        .value_kind:     by_value
      - .actual_access:  read_only
        .address_space:  global
        .offset:         48
        .size:           8
        .value_kind:     global_buffer
      - .actual_access:  read_only
        .address_space:  global
        .offset:         56
        .size:           8
        .value_kind:     global_buffer
      - .offset:         64
        .size:           4
        .value_kind:     by_value
      - .actual_access:  read_only
        .address_space:  global
        .offset:         72
        .size:           8
        .value_kind:     global_buffer
      - .actual_access:  read_only
        .address_space:  global
        .offset:         80
        .size:           8
        .value_kind:     global_buffer
      - .actual_access:  read_only
        .address_space:  global
        .offset:         88
        .size:           8
        .value_kind:     global_buffer
      - .actual_access:  write_only
        .address_space:  global
        .offset:         96
        .size:           8
        .value_kind:     global_buffer
    .group_segment_fixed_size: 0
    .kernarg_segment_align: 8
    .kernarg_segment_size: 104
    .language:       OpenCL C
    .language_version:
      - 2
      - 0
    .max_flat_workgroup_size: 256
    .name:           fft_rtc_fwd_len2048_factors_16_16_8_wgs_256_tpt_256_halfLds_half_op_CI_CI_unitstride_sbrr_dirReg
    .private_segment_fixed_size: 0
    .sgpr_count:     34
    .sgpr_spill_count: 0
    .symbol:         fft_rtc_fwd_len2048_factors_16_16_8_wgs_256_tpt_256_halfLds_half_op_CI_CI_unitstride_sbrr_dirReg.kd
    .uniform_work_group_size: 1
    .uses_dynamic_stack: false
    .vgpr_count:     63
    .vgpr_spill_count: 0
    .wavefront_size: 64
amdhsa.target:   amdgcn-amd-amdhsa--gfx950
amdhsa.version:
  - 1
  - 2
...

	.end_amdgpu_metadata
